;; amdgpu-corpus repo=ROCm/rocFFT kind=compiled arch=gfx906 opt=O3
	.text
	.amdgcn_target "amdgcn-amd-amdhsa--gfx906"
	.amdhsa_code_object_version 6
	.protected	fft_rtc_fwd_len182_factors_13_2_7_wgs_52_tpt_13_sp_ip_CI_sbrr_dirReg ; -- Begin function fft_rtc_fwd_len182_factors_13_2_7_wgs_52_tpt_13_sp_ip_CI_sbrr_dirReg
	.globl	fft_rtc_fwd_len182_factors_13_2_7_wgs_52_tpt_13_sp_ip_CI_sbrr_dirReg
	.p2align	8
	.type	fft_rtc_fwd_len182_factors_13_2_7_wgs_52_tpt_13_sp_ip_CI_sbrr_dirReg,@function
fft_rtc_fwd_len182_factors_13_2_7_wgs_52_tpt_13_sp_ip_CI_sbrr_dirReg: ; @fft_rtc_fwd_len182_factors_13_2_7_wgs_52_tpt_13_sp_ip_CI_sbrr_dirReg
; %bb.0:
	s_load_dwordx2 s[14:15], s[4:5], 0x18
	s_load_dwordx4 s[8:11], s[4:5], 0x0
	s_load_dwordx2 s[12:13], s[4:5], 0x50
	v_mul_u32_u24_e32 v1, 0x13b2, v0
	v_lshrrev_b32_e32 v57, 16, v1
	s_waitcnt lgkmcnt(0)
	s_load_dwordx2 s[2:3], s[14:15], 0x0
	v_cmp_lt_u64_e64 s[0:1], s[10:11], 2
	v_mov_b32_e32 v3, 0
	v_mov_b32_e32 v1, 0
	v_lshl_add_u32 v5, s6, 2, v57
	v_mov_b32_e32 v6, v3
	s_and_b64 vcc, exec, s[0:1]
	v_mov_b32_e32 v2, 0
	s_cbranch_vccnz .LBB0_8
; %bb.1:
	s_load_dwordx2 s[0:1], s[4:5], 0x10
	s_add_u32 s6, s14, 8
	s_addc_u32 s7, s15, 0
	v_mov_b32_e32 v1, 0
	v_mov_b32_e32 v2, 0
	s_waitcnt lgkmcnt(0)
	s_add_u32 s16, s0, 8
	s_addc_u32 s17, s1, 0
	s_mov_b64 s[18:19], 1
.LBB0_2:                                ; =>This Inner Loop Header: Depth=1
	s_load_dwordx2 s[20:21], s[16:17], 0x0
                                        ; implicit-def: $vgpr7_vgpr8
	s_waitcnt lgkmcnt(0)
	v_or_b32_e32 v4, s21, v6
	v_cmp_ne_u64_e32 vcc, 0, v[3:4]
	s_and_saveexec_b64 s[0:1], vcc
	s_xor_b64 s[22:23], exec, s[0:1]
	s_cbranch_execz .LBB0_4
; %bb.3:                                ;   in Loop: Header=BB0_2 Depth=1
	v_cvt_f32_u32_e32 v4, s20
	v_cvt_f32_u32_e32 v7, s21
	s_sub_u32 s0, 0, s20
	s_subb_u32 s1, 0, s21
	v_mac_f32_e32 v4, 0x4f800000, v7
	v_rcp_f32_e32 v4, v4
	v_mul_f32_e32 v4, 0x5f7ffffc, v4
	v_mul_f32_e32 v7, 0x2f800000, v4
	v_trunc_f32_e32 v7, v7
	v_mac_f32_e32 v4, 0xcf800000, v7
	v_cvt_u32_f32_e32 v7, v7
	v_cvt_u32_f32_e32 v4, v4
	v_mul_lo_u32 v8, s0, v7
	v_mul_hi_u32 v9, s0, v4
	v_mul_lo_u32 v11, s1, v4
	v_mul_lo_u32 v10, s0, v4
	v_add_u32_e32 v8, v9, v8
	v_add_u32_e32 v8, v8, v11
	v_mul_hi_u32 v9, v4, v10
	v_mul_lo_u32 v11, v4, v8
	v_mul_hi_u32 v13, v4, v8
	v_mul_hi_u32 v12, v7, v10
	v_mul_lo_u32 v10, v7, v10
	v_mul_hi_u32 v14, v7, v8
	v_add_co_u32_e32 v9, vcc, v9, v11
	v_addc_co_u32_e32 v11, vcc, 0, v13, vcc
	v_mul_lo_u32 v8, v7, v8
	v_add_co_u32_e32 v9, vcc, v9, v10
	v_addc_co_u32_e32 v9, vcc, v11, v12, vcc
	v_addc_co_u32_e32 v10, vcc, 0, v14, vcc
	v_add_co_u32_e32 v8, vcc, v9, v8
	v_addc_co_u32_e32 v9, vcc, 0, v10, vcc
	v_add_co_u32_e32 v4, vcc, v4, v8
	v_addc_co_u32_e32 v7, vcc, v7, v9, vcc
	v_mul_lo_u32 v8, s0, v7
	v_mul_hi_u32 v9, s0, v4
	v_mul_lo_u32 v10, s1, v4
	v_mul_lo_u32 v11, s0, v4
	v_add_u32_e32 v8, v9, v8
	v_add_u32_e32 v8, v8, v10
	v_mul_lo_u32 v12, v4, v8
	v_mul_hi_u32 v13, v4, v11
	v_mul_hi_u32 v14, v4, v8
	v_mul_hi_u32 v10, v7, v11
	v_mul_lo_u32 v11, v7, v11
	v_mul_hi_u32 v9, v7, v8
	v_add_co_u32_e32 v12, vcc, v13, v12
	v_addc_co_u32_e32 v13, vcc, 0, v14, vcc
	v_mul_lo_u32 v8, v7, v8
	v_add_co_u32_e32 v11, vcc, v12, v11
	v_addc_co_u32_e32 v10, vcc, v13, v10, vcc
	v_addc_co_u32_e32 v9, vcc, 0, v9, vcc
	v_add_co_u32_e32 v8, vcc, v10, v8
	v_addc_co_u32_e32 v9, vcc, 0, v9, vcc
	v_add_co_u32_e32 v4, vcc, v4, v8
	v_addc_co_u32_e32 v9, vcc, v7, v9, vcc
	v_mad_u64_u32 v[7:8], s[0:1], v5, v9, 0
	v_mul_hi_u32 v10, v5, v4
	v_add_co_u32_e32 v11, vcc, v10, v7
	v_addc_co_u32_e32 v12, vcc, 0, v8, vcc
	v_mad_u64_u32 v[7:8], s[0:1], v6, v4, 0
	v_mad_u64_u32 v[9:10], s[0:1], v6, v9, 0
	v_add_co_u32_e32 v4, vcc, v11, v7
	v_addc_co_u32_e32 v4, vcc, v12, v8, vcc
	v_addc_co_u32_e32 v7, vcc, 0, v10, vcc
	v_add_co_u32_e32 v4, vcc, v4, v9
	v_addc_co_u32_e32 v9, vcc, 0, v7, vcc
	v_mul_lo_u32 v10, s21, v4
	v_mul_lo_u32 v11, s20, v9
	v_mad_u64_u32 v[7:8], s[0:1], s20, v4, 0
	v_add3_u32 v8, v8, v11, v10
	v_sub_u32_e32 v10, v6, v8
	v_mov_b32_e32 v11, s21
	v_sub_co_u32_e32 v7, vcc, v5, v7
	v_subb_co_u32_e64 v10, s[0:1], v10, v11, vcc
	v_subrev_co_u32_e64 v11, s[0:1], s20, v7
	v_subbrev_co_u32_e64 v10, s[0:1], 0, v10, s[0:1]
	v_cmp_le_u32_e64 s[0:1], s21, v10
	v_cndmask_b32_e64 v12, 0, -1, s[0:1]
	v_cmp_le_u32_e64 s[0:1], s20, v11
	v_cndmask_b32_e64 v11, 0, -1, s[0:1]
	v_cmp_eq_u32_e64 s[0:1], s21, v10
	v_cndmask_b32_e64 v10, v12, v11, s[0:1]
	v_add_co_u32_e64 v11, s[0:1], 2, v4
	v_addc_co_u32_e64 v12, s[0:1], 0, v9, s[0:1]
	v_add_co_u32_e64 v13, s[0:1], 1, v4
	v_addc_co_u32_e64 v14, s[0:1], 0, v9, s[0:1]
	v_subb_co_u32_e32 v8, vcc, v6, v8, vcc
	v_cmp_ne_u32_e64 s[0:1], 0, v10
	v_cmp_le_u32_e32 vcc, s21, v8
	v_cndmask_b32_e64 v10, v14, v12, s[0:1]
	v_cndmask_b32_e64 v12, 0, -1, vcc
	v_cmp_le_u32_e32 vcc, s20, v7
	v_cndmask_b32_e64 v7, 0, -1, vcc
	v_cmp_eq_u32_e32 vcc, s21, v8
	v_cndmask_b32_e32 v7, v12, v7, vcc
	v_cmp_ne_u32_e32 vcc, 0, v7
	v_cndmask_b32_e64 v7, v13, v11, s[0:1]
	v_cndmask_b32_e32 v8, v9, v10, vcc
	v_cndmask_b32_e32 v7, v4, v7, vcc
.LBB0_4:                                ;   in Loop: Header=BB0_2 Depth=1
	s_andn2_saveexec_b64 s[0:1], s[22:23]
	s_cbranch_execz .LBB0_6
; %bb.5:                                ;   in Loop: Header=BB0_2 Depth=1
	v_cvt_f32_u32_e32 v4, s20
	s_sub_i32 s22, 0, s20
	v_rcp_iflag_f32_e32 v4, v4
	v_mul_f32_e32 v4, 0x4f7ffffe, v4
	v_cvt_u32_f32_e32 v4, v4
	v_mul_lo_u32 v7, s22, v4
	v_mul_hi_u32 v7, v4, v7
	v_add_u32_e32 v4, v4, v7
	v_mul_hi_u32 v4, v5, v4
	v_mul_lo_u32 v7, v4, s20
	v_add_u32_e32 v8, 1, v4
	v_sub_u32_e32 v7, v5, v7
	v_subrev_u32_e32 v9, s20, v7
	v_cmp_le_u32_e32 vcc, s20, v7
	v_cndmask_b32_e32 v7, v7, v9, vcc
	v_cndmask_b32_e32 v4, v4, v8, vcc
	v_add_u32_e32 v8, 1, v4
	v_cmp_le_u32_e32 vcc, s20, v7
	v_cndmask_b32_e32 v7, v4, v8, vcc
	v_mov_b32_e32 v8, v3
.LBB0_6:                                ;   in Loop: Header=BB0_2 Depth=1
	s_or_b64 exec, exec, s[0:1]
	v_mul_lo_u32 v4, v8, s20
	v_mul_lo_u32 v11, v7, s21
	v_mad_u64_u32 v[9:10], s[0:1], v7, s20, 0
	s_load_dwordx2 s[0:1], s[6:7], 0x0
	s_add_u32 s18, s18, 1
	v_add3_u32 v4, v10, v11, v4
	v_sub_co_u32_e32 v5, vcc, v5, v9
	v_subb_co_u32_e32 v4, vcc, v6, v4, vcc
	s_waitcnt lgkmcnt(0)
	v_mul_lo_u32 v4, s0, v4
	v_mul_lo_u32 v6, s1, v5
	v_mad_u64_u32 v[1:2], s[0:1], s0, v5, v[1:2]
	s_addc_u32 s19, s19, 0
	s_add_u32 s6, s6, 8
	v_add3_u32 v2, v6, v2, v4
	v_mov_b32_e32 v4, s10
	v_mov_b32_e32 v5, s11
	s_addc_u32 s7, s7, 0
	v_cmp_ge_u64_e32 vcc, s[18:19], v[4:5]
	s_add_u32 s16, s16, 8
	s_addc_u32 s17, s17, 0
	s_cbranch_vccnz .LBB0_9
; %bb.7:                                ;   in Loop: Header=BB0_2 Depth=1
	v_mov_b32_e32 v5, v7
	v_mov_b32_e32 v6, v8
	s_branch .LBB0_2
.LBB0_8:
	v_mov_b32_e32 v8, v6
	v_mov_b32_e32 v7, v5
.LBB0_9:
	s_lshl_b64 s[0:1], s[10:11], 3
	s_add_u32 s0, s14, s0
	s_addc_u32 s1, s15, s1
	s_load_dwordx2 s[6:7], s[0:1], 0x0
	s_load_dwordx2 s[10:11], s[4:5], 0x20
                                        ; implicit-def: $vgpr46
                                        ; implicit-def: $vgpr52
                                        ; implicit-def: $vgpr48
                                        ; implicit-def: $vgpr42
                                        ; implicit-def: $vgpr38
                                        ; implicit-def: $vgpr34
                                        ; implicit-def: $vgpr30
                                        ; implicit-def: $vgpr32
                                        ; implicit-def: $vgpr36
                                        ; implicit-def: $vgpr40
                                        ; implicit-def: $vgpr50
                                        ; implicit-def: $vgpr10
                                        ; implicit-def: $vgpr12
                                        ; implicit-def: $vgpr24
                                        ; implicit-def: $vgpr22
                                        ; implicit-def: $vgpr14
                                        ; implicit-def: $vgpr16
                                        ; implicit-def: $vgpr26
                                        ; implicit-def: $vgpr28
                                        ; implicit-def: $vgpr18
                                        ; implicit-def: $vgpr20
                                        ; implicit-def: $vgpr54
                                        ; implicit-def: $vgpr44
	s_waitcnt lgkmcnt(0)
	v_mad_u64_u32 v[5:6], s[0:1], s6, v7, v[1:2]
	s_mov_b32 s0, 0x13b13b14
	v_mul_lo_u32 v3, s6, v8
	v_mul_lo_u32 v4, s7, v7
	v_mul_hi_u32 v1, v0, s0
	v_cmp_gt_u64_e32 vcc, s[10:11], v[7:8]
                                        ; implicit-def: $vgpr8
	v_add3_u32 v6, v4, v6, v3
	v_mul_u32_u24_e32 v1, 13, v1
	v_sub_u32_e32 v2, v0, v1
	v_lshlrev_b64 v[0:1], 3, v[5:6]
	v_mov_b32_e32 v4, 0
	v_mov_b32_e32 v3, 0
                                        ; implicit-def: $vgpr6
	s_and_saveexec_b64 s[4:5], vcc
	s_cbranch_execz .LBB0_13
; %bb.10:
	v_mad_u64_u32 v[3:4], s[0:1], s2, v2, 0
	v_add_u32_e32 v8, 14, v2
	v_mov_b32_e32 v7, s13
	v_mad_u64_u32 v[4:5], s[0:1], s3, v2, v[4:5]
	v_mad_u64_u32 v[5:6], s[0:1], s2, v8, 0
	v_add_co_u32_e64 v55, s[0:1], s12, v0
	v_addc_co_u32_e64 v56, s[0:1], v7, v1, s[0:1]
	v_mad_u64_u32 v[6:7], s[0:1], s3, v8, v[6:7]
	v_add_u32_e32 v9, 28, v2
	v_mad_u64_u32 v[7:8], s[0:1], s2, v9, 0
	v_lshlrev_b64 v[3:4], 3, v[3:4]
	v_add_u32_e32 v11, 42, v2
	v_add_co_u32_e64 v3, s[0:1], v55, v3
	v_addc_co_u32_e64 v4, s[0:1], v56, v4, s[0:1]
	v_mad_u64_u32 v[8:9], s[0:1], s3, v9, v[8:9]
	v_mad_u64_u32 v[9:10], s[0:1], s2, v11, 0
	v_lshlrev_b64 v[5:6], 3, v[5:6]
	v_add_u32_e32 v13, 56, v2
	v_add_co_u32_e64 v5, s[0:1], v55, v5
	v_addc_co_u32_e64 v6, s[0:1], v56, v6, s[0:1]
	v_mad_u64_u32 v[10:11], s[0:1], s3, v11, v[10:11]
	;; [unrolled: 6-line block ×5, first 2 shown]
	v_mad_u64_u32 v[17:18], s[0:1], s2, v19, 0
	v_lshlrev_b64 v[13:14], 3, v[13:14]
	v_or_b32_e32 v21, 0x70, v2
	v_add_co_u32_e64 v13, s[0:1], v55, v13
	v_addc_co_u32_e64 v14, s[0:1], v56, v14, s[0:1]
	v_mad_u64_u32 v[18:19], s[0:1], s3, v19, v[18:19]
	v_mad_u64_u32 v[19:20], s[0:1], s2, v21, 0
	v_lshlrev_b64 v[15:16], 3, v[15:16]
	v_add_u32_e32 v23, 0x7e, v2
	v_add_co_u32_e64 v15, s[0:1], v55, v15
	v_addc_co_u32_e64 v16, s[0:1], v56, v16, s[0:1]
	v_mad_u64_u32 v[20:21], s[0:1], s3, v21, v[20:21]
	v_mad_u64_u32 v[21:22], s[0:1], s2, v23, 0
	v_lshlrev_b64 v[17:18], 3, v[17:18]
	v_add_u32_e32 v25, 0x8c, v2
	;; [unrolled: 6-line block ×4, first 2 shown]
	v_add_co_u32_e64 v21, s[0:1], v55, v21
	v_addc_co_u32_e64 v22, s[0:1], v56, v22, s[0:1]
	v_mad_u64_u32 v[26:27], s[0:1], s3, v27, v[26:27]
	v_mad_u64_u32 v[27:28], s[0:1], s2, v29, 0
	v_lshlrev_b64 v[23:24], 3, v[23:24]
	v_lshlrev_b64 v[25:26], 3, v[25:26]
	v_add_co_u32_e64 v23, s[0:1], v55, v23
	v_addc_co_u32_e64 v24, s[0:1], v56, v24, s[0:1]
	v_mad_u64_u32 v[28:29], s[0:1], s3, v29, v[28:29]
	v_add_co_u32_e64 v25, s[0:1], v55, v25
	v_lshlrev_b64 v[27:28], 3, v[27:28]
	v_addc_co_u32_e64 v26, s[0:1], v56, v26, s[0:1]
	v_add_co_u32_e64 v27, s[0:1], v55, v27
	v_addc_co_u32_e64 v28, s[0:1], v56, v28, s[0:1]
	global_load_dwordx2 v[45:46], v[3:4], off
	global_load_dwordx2 v[51:52], v[5:6], off
	;; [unrolled: 1-line block ×13, first 2 shown]
	v_cmp_eq_u32_e64 s[0:1], 0, v2
	v_mov_b32_e32 v3, 0
	v_mov_b32_e32 v4, 0
                                        ; implicit-def: $vgpr19
                                        ; implicit-def: $vgpr17
                                        ; implicit-def: $vgpr27
                                        ; implicit-def: $vgpr25
                                        ; implicit-def: $vgpr15
                                        ; implicit-def: $vgpr13
                                        ; implicit-def: $vgpr21
                                        ; implicit-def: $vgpr23
                                        ; implicit-def: $vgpr11
                                        ; implicit-def: $vgpr9
                                        ; implicit-def: $vgpr7
                                        ; implicit-def: $vgpr5
	s_and_saveexec_b64 s[6:7], s[0:1]
	s_cbranch_execz .LBB0_12
; %bb.11:
	v_mov_b32_e32 v2, 0x68
	v_mad_u64_u32 v[2:3], s[0:1], s2, v2, v[55:56]
	s_mul_i32 s0, s3, 0x68
	v_mov_b32_e32 v5, 0xd8
	v_add_u32_e32 v3, s0, v3
	global_load_dwordx2 v[3:4], v[2:3], off
	v_mad_u64_u32 v[13:14], s[0:1], s2, v5, v[55:56]
	v_mov_b32_e32 v2, 0x148
	v_mad_u64_u32 v[15:16], s[0:1], s2, v2, v[55:56]
	s_mul_i32 s0, s3, 0xd8
	v_add_u32_e32 v14, s0, v14
	s_mul_i32 s0, s3, 0x148
	v_mov_b32_e32 v2, 0x1b8
	v_add_u32_e32 v16, s0, v16
	v_mad_u64_u32 v[17:18], s[0:1], s2, v2, v[55:56]
	v_mov_b32_e32 v2, 0x228
	v_mad_u64_u32 v[19:20], s[0:1], s2, v2, v[55:56]
	s_mul_i32 s0, s3, 0x1b8
	v_add_u32_e32 v18, s0, v18
	s_mul_i32 s0, s3, 0x228
	v_mov_b32_e32 v2, 0x298
	v_add_u32_e32 v20, s0, v20
	global_load_dwordx2 v[5:6], v[13:14], off
	global_load_dwordx2 v[7:8], v[15:16], off
	;; [unrolled: 1-line block ×4, first 2 shown]
	v_mad_u64_u32 v[13:14], s[0:1], s2, v2, v[55:56]
	v_mov_b32_e32 v2, 0x308
	v_mad_u64_u32 v[15:16], s[0:1], s2, v2, v[55:56]
	s_mul_i32 s0, s3, 0x298
	v_add_u32_e32 v14, s0, v14
	s_mul_i32 s0, s3, 0x308
	v_mov_b32_e32 v2, 0x378
	v_add_u32_e32 v16, s0, v16
	v_mad_u64_u32 v[25:26], s[0:1], s2, v2, v[55:56]
	v_mov_b32_e32 v2, 0x3e8
	v_mad_u64_u32 v[27:28], s[0:1], s2, v2, v[55:56]
	s_mul_i32 s0, s3, 0x378
	v_add_u32_e32 v26, s0, v26
	s_mul_i32 s0, s3, 0x3e8
	v_mov_b32_e32 v2, 0x458
	v_add_u32_e32 v28, s0, v28
	;; [unrolled: 8-line block ×3, first 2 shown]
	v_mad_u64_u32 v[62:63], s[0:1], s2, v2, v[55:56]
	v_mov_b32_e32 v2, 0x5a8
	v_mad_u64_u32 v[55:56], s[0:1], s2, v2, v[55:56]
	s_mul_i32 s0, s3, 0x538
	v_add_u32_e32 v63, s0, v63
	s_mul_i32 s0, s3, 0x5a8
	global_load_dwordx2 v[23:24], v[13:14], off
	global_load_dwordx2 v[21:22], v[15:16], off
	global_load_dwordx2 v[19:20], v[25:26], off
	global_load_dwordx2 v[17:18], v[27:28], off
	v_add_u32_e32 v56, s0, v56
	global_load_dwordx2 v[27:28], v[58:59], off
	global_load_dwordx2 v[25:26], v[60:61], off
	;; [unrolled: 1-line block ×4, first 2 shown]
	v_mov_b32_e32 v2, 0
.LBB0_12:
	s_or_b64 exec, exec, s[6:7]
.LBB0_13:
	s_or_b64 exec, exec, s[4:5]
	s_waitcnt vmcnt(11)
	v_add_f32_e32 v56, v45, v51
	v_and_b32_e32 v55, 3, v57
	v_add_f32_e32 v57, v46, v52
	s_waitcnt vmcnt(10)
	v_add_f32_e32 v56, v56, v47
	v_add_f32_e32 v57, v57, v48
	s_waitcnt vmcnt(9)
	v_add_f32_e32 v56, v56, v41
	;; [unrolled: 3-line block ×7, first 2 shown]
	s_waitcnt vmcnt(0)
	v_add_f32_e32 v58, v53, v51
	v_sub_f32_e32 v51, v51, v53
	v_add_f32_e32 v57, v57, v36
	v_add_f32_e32 v56, v56, v39
	v_mul_f32_e32 v60, 0xbeedf032, v51
	v_mul_f32_e32 v64, 0xbf52af12, v51
	;; [unrolled: 1-line block ×6, first 2 shown]
	v_add_f32_e32 v57, v57, v40
	v_add_f32_e32 v56, v56, v43
	;; [unrolled: 1-line block ×3, first 2 shown]
	s_mov_b32 s6, 0x3f62ad3f
	v_mov_b32_e32 v61, v60
	s_mov_b32 s7, 0x3f116cb1
	v_mov_b32_e32 v65, v64
	;; [unrolled: 2-line block ×6, first 2 shown]
	v_add_f32_e32 v57, v57, v44
	v_add_f32_e32 v56, v56, v49
	v_fmac_f32_e32 v61, 0x3f62ad3f, v59
	v_fma_f32 v60, v59, s6, -v60
	v_fmac_f32_e32 v65, 0x3f116cb1, v59
	v_fma_f32 v64, v59, s7, -v64
	;; [unrolled: 2-line block ×6, first 2 shown]
	v_add_f32_e32 v57, v57, v50
	v_add_f32_e32 v56, v53, v56
	v_mul_f32_e32 v53, 0x3f62ad3f, v58
	v_add_f32_e32 v61, v61, v46
	v_add_f32_e32 v60, v60, v46
	v_mul_f32_e32 v62, 0x3f116cb1, v58
	;; [unrolled: 3-line block ×6, first 2 shown]
	v_add_f32_e32 v79, v79, v46
	v_add_f32_e32 v46, v51, v46
	;; [unrolled: 1-line block ×4, first 2 shown]
	v_sub_f32_e32 v52, v52, v54
	v_mov_b32_e32 v54, v53
	v_mov_b32_e32 v63, v62
	;; [unrolled: 1-line block ×6, first 2 shown]
	v_sub_f32_e32 v47, v47, v49
	v_mul_f32_e32 v49, 0x3f116cb1, v51
	v_fmac_f32_e32 v54, 0x3eedf032, v52
	v_fmac_f32_e32 v53, 0xbeedf032, v52
	;; [unrolled: 1-line block ×12, first 2 shown]
	v_add_f32_e32 v52, v48, v50
	v_sub_f32_e32 v48, v48, v50
	v_mov_b32_e32 v50, v49
	v_add_f32_e32 v54, v54, v45
	v_fmac_f32_e32 v50, 0x3f52af12, v48
	v_add_f32_e32 v53, v53, v45
	v_add_f32_e32 v50, v50, v54
	v_mul_f32_e32 v54, 0xbf52af12, v47
	v_fmac_f32_e32 v49, 0xbf52af12, v48
	v_add_f32_e32 v63, v63, v45
	v_add_f32_e32 v62, v62, v45
	;; [unrolled: 1-line block ×10, first 2 shown]
	v_mov_b32_e32 v58, v54
	v_add_f32_e32 v49, v49, v53
	v_fma_f32 v53, v52, s7, -v54
	v_mul_f32_e32 v54, 0xbeb58ec6, v51
	v_mov_b32_e32 v59, v54
	v_fmac_f32_e32 v54, 0xbf6f5d39, v48
	v_fmac_f32_e32 v58, 0x3f116cb1, v52
	v_add_f32_e32 v53, v53, v60
	v_fmac_f32_e32 v59, 0x3f6f5d39, v48
	v_mul_f32_e32 v60, 0xbf6f5d39, v47
	v_add_f32_e32 v54, v54, v62
	v_mul_f32_e32 v62, 0xbf788fa5, v51
	v_add_f32_e32 v58, v58, v61
	v_add_f32_e32 v59, v59, v63
	v_mov_b32_e32 v61, v60
	v_fma_f32 v60, v52, s11, -v60
	v_mov_b32_e32 v63, v62
	v_fmac_f32_e32 v62, 0xbe750f2a, v48
	v_fmac_f32_e32 v61, 0xbeb58ec6, v52
	v_add_f32_e32 v60, v60, v64
	v_fmac_f32_e32 v63, 0x3e750f2a, v48
	v_mul_f32_e32 v64, 0xbe750f2a, v47
	v_add_f32_e32 v62, v62, v66
	v_mul_f32_e32 v66, 0xbf3f9e67, v51
	v_add_f32_e32 v61, v61, v65
	v_add_f32_e32 v63, v63, v67
	v_mov_b32_e32 v65, v64
	v_fma_f32 v64, v52, s15, -v64
	;; [unrolled: 12-line block ×3, first 2 shown]
	v_mov_b32_e32 v71, v70
	v_add_f32_e32 v68, v68, v72
	v_fmac_f32_e32 v71, 0xbf7e222b, v48
	v_mul_f32_e32 v72, 0x3f7e222b, v47
	v_mul_f32_e32 v47, 0x3eedf032, v47
	v_add_f32_e32 v71, v71, v75
	v_mov_b32_e32 v75, v47
	v_fma_f32 v47, v52, s6, -v47
	v_fmac_f32_e32 v70, 0x3f7e222b, v48
	v_mul_f32_e32 v51, 0x3f62ad3f, v51
	v_add_f32_e32 v46, v47, v46
	v_add_f32_e32 v47, v43, v41
	;; [unrolled: 1-line block ×3, first 2 shown]
	v_mov_b32_e32 v74, v51
	v_sub_f32_e32 v41, v41, v43
	v_mul_f32_e32 v43, 0x3df6dbef, v47
	v_fmac_f32_e32 v74, 0xbeedf032, v48
	v_fmac_f32_e32 v51, 0x3eedf032, v48
	v_add_f32_e32 v48, v44, v42
	v_sub_f32_e32 v42, v42, v44
	v_mov_b32_e32 v44, v43
	v_fmac_f32_e32 v44, 0x3f7e222b, v42
	v_fmac_f32_e32 v69, 0xbf3f9e67, v52
	v_add_f32_e32 v44, v50, v44
	v_mul_f32_e32 v50, 0xbf7e222b, v41
	v_fmac_f32_e32 v43, 0xbf7e222b, v42
	v_add_f32_e32 v69, v69, v73
	v_mov_b32_e32 v73, v72
	v_add_f32_e32 v45, v51, v45
	v_mov_b32_e32 v51, v50
	v_add_f32_e32 v43, v49, v43
	v_fma_f32 v49, v48, s10, -v50
	v_mul_f32_e32 v50, 0xbf788fa5, v47
	v_fmac_f32_e32 v73, 0x3df6dbef, v52
	v_fma_f32 v72, v52, s10, -v72
	v_fmac_f32_e32 v75, 0x3f62ad3f, v52
	v_mov_b32_e32 v52, v50
	v_fmac_f32_e32 v50, 0xbe750f2a, v42
	v_fmac_f32_e32 v52, 0x3e750f2a, v42
	v_add_f32_e32 v50, v54, v50
	v_mul_f32_e32 v54, 0xbeb58ec6, v47
	v_fmac_f32_e32 v51, 0x3df6dbef, v48
	v_add_f32_e32 v49, v53, v49
	v_add_f32_e32 v52, v59, v52
	v_mul_f32_e32 v53, 0xbe750f2a, v41
	v_mov_b32_e32 v59, v54
	v_fmac_f32_e32 v54, 0x3f6f5d39, v42
	v_add_f32_e32 v51, v58, v51
	v_mov_b32_e32 v58, v53
	v_fma_f32 v53, v48, s15, -v53
	v_fmac_f32_e32 v59, 0xbf6f5d39, v42
	v_add_f32_e32 v54, v62, v54
	v_mul_f32_e32 v62, 0x3f62ad3f, v47
	v_fmac_f32_e32 v58, 0xbf788fa5, v48
	v_add_f32_e32 v53, v60, v53
	v_add_f32_e32 v59, v63, v59
	v_mul_f32_e32 v60, 0x3f6f5d39, v41
	v_mov_b32_e32 v63, v62
	v_fmac_f32_e32 v62, 0x3eedf032, v42
	v_add_f32_e32 v58, v61, v58
	v_mov_b32_e32 v61, v60
	v_fma_f32 v60, v48, s11, -v60
	v_fmac_f32_e32 v63, 0xbeedf032, v42
	v_add_f32_e32 v62, v66, v62
	v_mul_f32_e32 v66, 0x3f116cb1, v47
	v_fmac_f32_e32 v61, 0xbeb58ec6, v48
	v_add_f32_e32 v60, v64, v60
	v_add_f32_e32 v63, v67, v63
	v_mul_f32_e32 v64, 0x3eedf032, v41
	v_mov_b32_e32 v67, v66
	v_fmac_f32_e32 v66, 0xbf52af12, v42
	v_mul_f32_e32 v47, 0xbf3f9e67, v47
	v_add_f32_e32 v61, v65, v61
	v_mov_b32_e32 v65, v64
	v_fma_f32 v64, v48, s6, -v64
	v_add_f32_e32 v66, v70, v66
	v_mov_b32_e32 v70, v47
	v_fmac_f32_e32 v47, 0xbf29c268, v42
	v_add_f32_e32 v64, v68, v64
	v_fmac_f32_e32 v67, 0x3f52af12, v42
	v_mul_f32_e32 v68, 0xbf52af12, v41
	v_fmac_f32_e32 v70, 0x3f29c268, v42
	v_mul_f32_e32 v41, 0xbf29c268, v41
	v_add_f32_e32 v42, v45, v47
	v_add_f32_e32 v45, v37, v39
	;; [unrolled: 1-line block ×3, first 2 shown]
	v_mov_b32_e32 v71, v41
	v_fma_f32 v41, v48, s14, -v41
	v_sub_f32_e32 v37, v37, v39
	v_mul_f32_e32 v39, 0xbeb58ec6, v45
	v_add_f32_e32 v41, v46, v41
	v_add_f32_e32 v46, v38, v40
	v_sub_f32_e32 v38, v38, v40
	v_mov_b32_e32 v40, v39
	v_fmac_f32_e32 v40, 0x3f6f5d39, v38
	v_fmac_f32_e32 v65, 0x3f62ad3f, v48
	v_add_f32_e32 v40, v40, v44
	v_mul_f32_e32 v44, 0xbf6f5d39, v37
	v_fmac_f32_e32 v39, 0xbf6f5d39, v38
	v_add_f32_e32 v65, v69, v65
	v_mov_b32_e32 v69, v68
	v_mov_b32_e32 v47, v44
	v_add_f32_e32 v39, v39, v43
	v_fma_f32 v43, v46, s11, -v44
	v_mul_f32_e32 v44, 0xbf3f9e67, v45
	v_fmac_f32_e32 v69, 0x3f116cb1, v48
	v_fma_f32 v68, v48, s7, -v68
	v_fmac_f32_e32 v71, 0xbf3f9e67, v48
	v_mov_b32_e32 v48, v44
	v_fmac_f32_e32 v44, 0x3f29c268, v38
	v_fmac_f32_e32 v47, 0xbeb58ec6, v46
	v_add_f32_e32 v43, v43, v49
	v_fmac_f32_e32 v48, 0xbf29c268, v38
	v_mul_f32_e32 v49, 0x3f29c268, v37
	v_add_f32_e32 v44, v44, v50
	v_mul_f32_e32 v50, 0x3f62ad3f, v45
	v_add_f32_e32 v47, v47, v51
	v_add_f32_e32 v48, v48, v52
	v_mov_b32_e32 v51, v49
	v_fma_f32 v49, v46, s14, -v49
	v_mov_b32_e32 v52, v50
	v_fmac_f32_e32 v50, 0x3eedf032, v38
	v_fmac_f32_e32 v51, 0xbf3f9e67, v46
	v_add_f32_e32 v49, v49, v53
	v_fmac_f32_e32 v52, 0xbeedf032, v38
	v_mul_f32_e32 v53, 0x3eedf032, v37
	v_add_f32_e32 v50, v50, v54
	v_mul_f32_e32 v54, 0x3df6dbef, v45
	v_add_f32_e32 v51, v51, v58
	v_add_f32_e32 v52, v52, v59
	v_mov_b32_e32 v58, v53
	v_fma_f32 v53, v46, s6, -v53
	;; [unrolled: 12-line block ×3, first 2 shown]
	v_mov_b32_e32 v63, v62
	v_add_f32_e32 v60, v60, v64
	v_fmac_f32_e32 v63, 0xbe750f2a, v38
	v_mul_f32_e32 v64, 0x3e750f2a, v37
	v_mul_f32_e32 v37, 0x3f52af12, v37
	v_add_f32_e32 v63, v63, v67
	v_mov_b32_e32 v67, v37
	v_fma_f32 v37, v46, s7, -v37
	v_fmac_f32_e32 v62, 0x3e750f2a, v38
	v_mul_f32_e32 v45, 0x3f116cb1, v45
	v_add_f32_e32 v37, v37, v41
	v_add_f32_e32 v41, v33, v35
	;; [unrolled: 1-line block ×3, first 2 shown]
	v_mov_b32_e32 v66, v45
	v_fmac_f32_e32 v45, 0x3f52af12, v38
	v_sub_f32_e32 v33, v33, v35
	v_mul_f32_e32 v35, 0xbf3f9e67, v41
	v_fmac_f32_e32 v66, 0xbf52af12, v38
	v_add_f32_e32 v38, v45, v42
	v_add_f32_e32 v42, v34, v36
	v_sub_f32_e32 v34, v34, v36
	v_mov_b32_e32 v36, v35
	v_fmac_f32_e32 v36, 0x3f29c268, v34
	v_fmac_f32_e32 v61, 0x3df6dbef, v46
	v_add_f32_e32 v36, v36, v40
	v_mul_f32_e32 v40, 0xbf29c268, v33
	v_fmac_f32_e32 v35, 0xbf29c268, v34
	v_add_f32_e32 v61, v61, v65
	v_mov_b32_e32 v65, v64
	v_mov_b32_e32 v45, v40
	v_add_f32_e32 v35, v35, v39
	v_fma_f32 v39, v42, s14, -v40
	v_mul_f32_e32 v40, 0x3df6dbef, v41
	v_fmac_f32_e32 v65, 0xbf788fa5, v46
	v_fma_f32 v64, v46, s15, -v64
	v_fmac_f32_e32 v67, 0x3f116cb1, v46
	v_fmac_f32_e32 v45, 0xbf3f9e67, v42
	v_add_f32_e32 v39, v39, v43
	v_mov_b32_e32 v43, v40
	v_mul_f32_e32 v46, 0x3f7e222b, v33
	v_fmac_f32_e32 v40, 0x3f7e222b, v34
	v_add_f32_e32 v45, v45, v47
	v_fmac_f32_e32 v43, 0xbf7e222b, v34
	v_mov_b32_e32 v47, v46
	v_add_f32_e32 v40, v40, v44
	v_fma_f32 v44, v42, s10, -v46
	v_mul_f32_e32 v46, 0x3f116cb1, v41
	v_add_f32_e32 v43, v43, v48
	v_fmac_f32_e32 v47, 0x3df6dbef, v42
	v_add_f32_e32 v44, v44, v49
	v_mov_b32_e32 v48, v46
	v_mul_f32_e32 v49, 0xbf52af12, v33
	v_fmac_f32_e32 v46, 0xbf52af12, v34
	v_add_f32_e32 v47, v47, v51
	v_fmac_f32_e32 v48, 0x3f52af12, v34
	v_mov_b32_e32 v51, v49
	v_add_f32_e32 v46, v46, v50
	v_fma_f32 v49, v42, s7, -v49
	v_mul_f32_e32 v50, 0xbf788fa5, v41
	v_add_f32_e32 v48, v48, v52
	;; [unrolled: 12-line block ×3, first 2 shown]
	v_add_f32_e32 v52, v52, v59
	v_fmac_f32_e32 v58, 0xbf788fa5, v42
	v_add_f32_e32 v53, v53, v60
	v_mov_b32_e32 v59, v54
	v_mul_f32_e32 v60, 0x3eedf032, v33
	v_add_f32_e32 v75, v75, v79
	v_add_f32_e32 v69, v73, v69
	v_add_f32_e32 v58, v58, v61
	v_fmac_f32_e32 v59, 0xbeedf032, v34
	v_mov_b32_e32 v61, v60
	v_mul_f32_e32 v33, 0xbf6f5d39, v33
	v_add_f32_e32 v71, v75, v71
	v_add_f32_e32 v65, v65, v69
	;; [unrolled: 1-line block ×3, first 2 shown]
	v_fmac_f32_e32 v61, 0x3f62ad3f, v42
	v_mov_b32_e32 v63, v33
	v_add_f32_e32 v72, v72, v76
	v_add_f32_e32 v67, v67, v71
	;; [unrolled: 1-line block ×3, first 2 shown]
	v_fmac_f32_e32 v63, 0xbeb58ec6, v42
	v_add_f32_e32 v65, v29, v31
	v_add_f32_e32 v74, v74, v78
	;; [unrolled: 1-line block ×3, first 2 shown]
	v_fmac_f32_e32 v54, 0x3eedf032, v34
	v_mul_f32_e32 v41, 0xbeb58ec6, v41
	v_add_f32_e32 v63, v63, v67
	v_sub_f32_e32 v67, v29, v31
	v_mul_f32_e32 v31, 0xbf788fa5, v65
	v_add_f32_e32 v70, v74, v70
	v_add_f32_e32 v64, v64, v68
	v_add_f32_e32 v54, v54, v62
	v_mov_b32_e32 v62, v41
	v_sub_f32_e32 v68, v30, v32
	v_mov_b32_e32 v29, v31
	v_add_f32_e32 v66, v66, v70
	v_fmac_f32_e32 v62, 0x3f6f5d39, v34
	v_fmac_f32_e32 v29, 0x3e750f2a, v68
	v_add_f32_e32 v62, v62, v66
	v_fma_f32 v33, v42, s11, -v33
	v_add_f32_e32 v66, v30, v32
	v_add_f32_e32 v29, v29, v36
	v_mul_f32_e32 v32, 0xbe750f2a, v67
	v_mul_f32_e32 v36, 0x3f62ad3f, v65
	v_fmac_f32_e32 v41, 0xbf6f5d39, v34
	v_add_f32_e32 v33, v33, v37
	v_mov_b32_e32 v30, v32
	v_fmac_f32_e32 v31, 0xbe750f2a, v68
	v_mov_b32_e32 v34, v36
	v_mul_f32_e32 v37, 0x3eedf032, v67
	v_fmac_f32_e32 v36, 0x3eedf032, v68
	v_fma_f32 v60, v42, s6, -v60
	v_fmac_f32_e32 v30, 0xbf788fa5, v66
	v_add_f32_e32 v31, v31, v35
	v_mov_b32_e32 v35, v37
	v_add_f32_e32 v36, v36, v40
	v_fma_f32 v37, v66, s6, -v37
	v_mul_f32_e32 v40, 0xbf3f9e67, v65
	v_add_f32_e32 v60, v60, v64
	v_add_f32_e32 v64, v41, v38
	;; [unrolled: 1-line block ×3, first 2 shown]
	v_fma_f32 v32, v66, s15, -v32
	v_fmac_f32_e32 v34, 0xbeedf032, v68
	v_add_f32_e32 v37, v37, v44
	v_mov_b32_e32 v38, v40
	v_mul_f32_e32 v41, 0xbf29c268, v67
	v_mul_f32_e32 v44, 0x3f116cb1, v65
	;; [unrolled: 1-line block ×3, first 2 shown]
	v_add_f32_e32 v32, v32, v39
	v_add_f32_e32 v34, v34, v43
	v_fmac_f32_e32 v38, 0x3f29c268, v68
	v_mov_b32_e32 v39, v41
	v_mov_b32_e32 v42, v44
	;; [unrolled: 1-line block ×3, first 2 shown]
	v_fma_f32 v45, v66, s7, -v45
	v_add_f32_e32 v38, v38, v48
	v_fmac_f32_e32 v39, 0xbf3f9e67, v66
	v_fmac_f32_e32 v40, 0xbf29c268, v68
	v_fma_f32 v41, v66, s14, -v41
	v_fmac_f32_e32 v42, 0xbf52af12, v68
	v_add_f32_e32 v45, v45, v53
	v_mul_f32_e32 v48, 0xbeb58ec6, v65
	v_mul_f32_e32 v53, 0x3f7e222b, v67
	v_mul_u32_u24_e32 v55, 0xb6, v55
	v_fmac_f32_e32 v35, 0x3f62ad3f, v66
	v_add_f32_e32 v39, v39, v51
	v_add_f32_e32 v40, v40, v46
	;; [unrolled: 1-line block ×4, first 2 shown]
	v_fmac_f32_e32 v44, 0x3f52af12, v68
	v_mov_b32_e32 v46, v48
	v_mul_f32_e32 v49, 0xbf6f5d39, v67
	v_fmac_f32_e32 v48, 0xbf6f5d39, v68
	v_mul_f32_e32 v52, 0x3df6dbef, v65
	v_mov_b32_e32 v51, v53
	v_fma_f32 v53, v66, s10, -v53
	v_add_f32_e32 v35, v35, v47
	v_add_f32_e32 v44, v44, v50
	v_mov_b32_e32 v47, v49
	v_add_f32_e32 v48, v48, v54
	v_mov_b32_e32 v50, v52
	v_add_f32_e32 v53, v53, v33
	v_mul_u32_u24_e32 v54, 0x68, v2
	v_lshlrev_b32_e32 v33, 3, v55
	v_fmac_f32_e32 v43, 0x3f116cb1, v66
	v_fmac_f32_e32 v46, 0x3f6f5d39, v68
	v_fmac_f32_e32 v47, 0xbeb58ec6, v66
	v_fma_f32 v49, v66, s11, -v49
	v_fmac_f32_e32 v50, 0xbf7e222b, v68
	v_fmac_f32_e32 v51, 0x3df6dbef, v66
	;; [unrolled: 1-line block ×3, first 2 shown]
	v_add3_u32 v54, 0, v54, v33
	v_cmp_eq_u32_e64 s[0:1], 0, v2
	v_add_f32_e32 v43, v43, v58
	v_add_f32_e32 v46, v46, v59
	;; [unrolled: 1-line block ×7, first 2 shown]
	ds_write2_b64 v54, v[56:57], v[29:30] offset1:1
	ds_write2_b64 v54, v[34:35], v[38:39] offset0:2 offset1:3
	ds_write2_b64 v54, v[42:43], v[46:47] offset0:4 offset1:5
	;; [unrolled: 1-line block ×5, first 2 shown]
	ds_write_b64 v54, v[31:32] offset:96
	s_and_saveexec_b64 s[4:5], s[0:1]
	s_cbranch_execz .LBB0_15
; %bb.14:
	v_sub_f32_e32 v64, v5, v13
	v_mul_f32_e32 v46, 0xbe750f2a, v64
	v_sub_f32_e32 v66, v7, v15
	v_add_f32_e32 v34, v6, v14
	v_mov_b32_e32 v29, v46
	v_mul_f32_e32 v48, 0x3eedf032, v66
	v_fmac_f32_e32 v29, 0xbf788fa5, v34
	v_add_f32_e32 v35, v8, v16
	v_mov_b32_e32 v30, v48
	v_sub_f32_e32 v69, v9, v25
	v_add_f32_e32 v29, v4, v29
	v_fmac_f32_e32 v30, 0x3f62ad3f, v35
	v_mul_f32_e32 v49, 0xbf29c268, v69
	v_add_f32_e32 v29, v29, v30
	v_add_f32_e32 v36, v10, v26
	v_mov_b32_e32 v30, v49
	v_sub_f32_e32 v72, v11, v27
	v_fmac_f32_e32 v30, 0xbf3f9e67, v36
	v_mul_f32_e32 v50, 0x3f52af12, v72
	v_add_f32_e32 v29, v29, v30
	v_add_f32_e32 v37, v12, v28
	v_mov_b32_e32 v30, v50
	v_sub_f32_e32 v74, v23, v17
	;; [unrolled: 6-line block ×3, first 2 shown]
	v_fmac_f32_e32 v30, 0xbeb58ec6, v38
	v_mul_f32_e32 v47, 0x3f7e222b, v59
	v_add_f32_e32 v29, v29, v30
	v_add_f32_e32 v39, v22, v20
	v_mov_b32_e32 v30, v47
	v_add_f32_e32 v75, v5, v13
	v_fmac_f32_e32 v30, 0x3df6dbef, v39
	v_mul_f32_e32 v52, 0xbf788fa5, v75
	v_add_f32_e32 v76, v7, v15
	v_add_f32_e32 v30, v29, v30
	v_sub_f32_e32 v40, v6, v14
	v_mov_b32_e32 v29, v52
	v_mul_f32_e32 v53, 0x3f62ad3f, v76
	v_fmac_f32_e32 v29, 0x3e750f2a, v40
	v_sub_f32_e32 v41, v8, v16
	v_mov_b32_e32 v31, v53
	v_add_f32_e32 v77, v9, v25
	v_add_f32_e32 v29, v3, v29
	v_fmac_f32_e32 v31, 0xbeedf032, v41
	v_mul_f32_e32 v54, 0xbf3f9e67, v77
	v_add_f32_e32 v29, v29, v31
	v_sub_f32_e32 v42, v10, v26
	v_mov_b32_e32 v31, v54
	v_add_f32_e32 v78, v11, v27
	v_fmac_f32_e32 v31, 0x3f29c268, v42
	v_mul_f32_e32 v56, 0x3f116cb1, v78
	v_add_f32_e32 v29, v29, v31
	v_sub_f32_e32 v43, v12, v28
	v_mov_b32_e32 v31, v56
	;; [unrolled: 6-line block ×4, first 2 shown]
	v_fmac_f32_e32 v31, 0xbf7e222b, v45
	v_mul_f32_e32 v60, 0xbf29c268, v64
	v_add_f32_e32 v29, v29, v31
	v_mov_b32_e32 v31, v60
	v_mul_f32_e32 v61, 0x3f7e222b, v66
	v_fmac_f32_e32 v31, 0xbf3f9e67, v34
	v_mov_b32_e32 v32, v61
	v_add_f32_e32 v31, v4, v31
	v_fmac_f32_e32 v32, 0x3df6dbef, v35
	v_mul_f32_e32 v62, 0xbf52af12, v69
	v_add_f32_e32 v31, v31, v32
	v_mov_b32_e32 v32, v62
	v_add_f32_e32 v5, v3, v5
	v_fmac_f32_e32 v32, 0x3f116cb1, v36
	v_mul_f32_e32 v63, 0x3e750f2a, v72
	v_add_f32_e32 v5, v5, v7
	v_add_f32_e32 v31, v31, v32
	v_mov_b32_e32 v32, v63
	v_add_f32_e32 v6, v4, v6
	v_add_f32_e32 v5, v5, v9
	v_fmac_f32_e32 v32, 0xbf788fa5, v37
	v_mul_f32_e32 v65, 0x3eedf032, v74
	v_add_f32_e32 v6, v6, v8
	v_add_f32_e32 v5, v5, v11
	;; [unrolled: 1-line block ×3, first 2 shown]
	v_mov_b32_e32 v32, v65
	v_add_f32_e32 v6, v6, v10
	v_add_f32_e32 v5, v5, v23
	v_mul_f32_e32 v23, 0xbf6f5d39, v64
	v_fmac_f32_e32 v32, 0x3f62ad3f, v38
	v_mul_f32_e32 v67, 0xbf3f9e67, v75
	v_add_f32_e32 v6, v6, v12
	v_mov_b32_e32 v7, v23
	v_add_f32_e32 v5, v5, v21
	v_mul_f32_e32 v21, 0x3f29c268, v66
	v_add_f32_e32 v31, v31, v32
	v_mov_b32_e32 v32, v67
	v_mul_f32_e32 v68, 0x3df6dbef, v76
	v_add_f32_e32 v6, v6, v24
	v_fmac_f32_e32 v7, 0xbeb58ec6, v34
	v_mov_b32_e32 v8, v21
	v_fmac_f32_e32 v32, 0x3f29c268, v40
	v_mov_b32_e32 v70, v68
	v_add_f32_e32 v7, v4, v7
	v_add_f32_e32 v6, v6, v22
	v_fmac_f32_e32 v8, 0xbf3f9e67, v35
	v_mul_f32_e32 v22, 0x3eedf032, v69
	v_add_f32_e32 v32, v3, v32
	v_fmac_f32_e32 v70, 0xbf7e222b, v41
	v_add_f32_e32 v7, v7, v8
	v_mov_b32_e32 v8, v22
	v_add_f32_e32 v32, v32, v70
	v_mul_f32_e32 v70, 0x3f116cb1, v77
	v_fmac_f32_e32 v8, 0x3f62ad3f, v36
	v_add_f32_e32 v5, v5, v19
	v_mul_f32_e32 v19, 0xbf7e222b, v72
	v_mov_b32_e32 v71, v70
	v_add_f32_e32 v7, v7, v8
	v_mov_b32_e32 v8, v19
	v_fmac_f32_e32 v71, 0x3f52af12, v42
	v_add_f32_e32 v6, v6, v20
	v_fmac_f32_e32 v8, 0x3df6dbef, v37
	v_mul_f32_e32 v20, 0x3e750f2a, v74
	v_add_f32_e32 v32, v32, v71
	v_mul_f32_e32 v71, 0xbf788fa5, v78
	v_add_f32_e32 v7, v7, v8
	v_mov_b32_e32 v8, v20
	v_mov_b32_e32 v73, v71
	v_fmac_f32_e32 v8, 0xbf788fa5, v38
	v_add_f32_e32 v5, v17, v5
	v_mul_f32_e32 v24, 0xbeb58ec6, v75
	v_fmac_f32_e32 v73, 0xbe750f2a, v43
	v_add_f32_e32 v7, v7, v8
	v_mov_b32_e32 v8, v24
	v_add_f32_e32 v5, v27, v5
	v_mul_f32_e32 v27, 0xbf3f9e67, v76
	v_add_f32_e32 v32, v32, v73
	v_mul_f32_e32 v73, 0x3f62ad3f, v79
	v_add_f32_e32 v6, v18, v6
	v_fmac_f32_e32 v8, 0x3f6f5d39, v40
	v_mov_b32_e32 v9, v27
	v_mov_b32_e32 v81, v73
	v_add_f32_e32 v8, v3, v8
	v_add_f32_e32 v6, v28, v6
	v_fmac_f32_e32 v9, 0xbf29c268, v41
	v_mul_f32_e32 v28, 0x3f62ad3f, v77
	v_fmac_f32_e32 v81, 0xbeedf032, v44
	v_mul_f32_e32 v82, 0xbf6f5d39, v59
	v_add_f32_e32 v8, v8, v9
	v_mov_b32_e32 v9, v28
	v_add_f32_e32 v81, v32, v81
	v_mov_b32_e32 v32, v82
	v_fmac_f32_e32 v9, 0xbeedf032, v42
	v_add_f32_e32 v5, v25, v5
	v_mul_f32_e32 v25, 0x3df6dbef, v78
	v_fmac_f32_e32 v32, 0xbeb58ec6, v39
	v_mul_f32_e32 v83, 0xbeb58ec6, v80
	v_add_f32_e32 v8, v8, v9
	v_mov_b32_e32 v9, v25
	v_add_f32_e32 v32, v31, v32
	v_mov_b32_e32 v31, v83
	v_add_f32_e32 v6, v26, v6
	v_fmac_f32_e32 v9, 0x3f7e222b, v43
	v_mul_f32_e32 v26, 0xbf788fa5, v79
	v_fmac_f32_e32 v31, 0x3f6f5d39, v45
	v_add_f32_e32 v8, v8, v9
	v_mov_b32_e32 v9, v26
	v_add_f32_e32 v31, v81, v31
	v_fmac_f32_e32 v9, 0xbe750f2a, v44
	v_mul_f32_e32 v81, 0x3f52af12, v59
	v_add_f32_e32 v9, v8, v9
	v_mov_b32_e32 v8, v81
	v_fmac_f32_e32 v8, 0x3f116cb1, v39
	v_mul_f32_e32 v84, 0x3f116cb1, v80
	v_add_f32_e32 v8, v7, v8
	v_mov_b32_e32 v7, v84
	;; [unrolled: 4-line block ×3, first 2 shown]
	v_mul_f32_e32 v86, 0xbe750f2a, v66
	v_fmac_f32_e32 v9, 0x3df6dbef, v34
	v_mov_b32_e32 v10, v86
	v_add_f32_e32 v9, v4, v9
	v_fmac_f32_e32 v10, 0xbf788fa5, v35
	v_mul_f32_e32 v87, 0x3f6f5d39, v69
	v_add_f32_e32 v9, v9, v10
	v_mov_b32_e32 v10, v87
	v_fmac_f32_e32 v10, 0xbeb58ec6, v36
	v_mul_f32_e32 v88, 0x3eedf032, v72
	v_add_f32_e32 v9, v9, v10
	v_mov_b32_e32 v10, v88
	;; [unrolled: 4-line block ×4, first 2 shown]
	v_mul_f32_e32 v91, 0xbf788fa5, v76
	v_fmac_f32_e32 v10, 0x3f7e222b, v40
	v_mov_b32_e32 v11, v91
	v_add_f32_e32 v10, v3, v10
	v_fmac_f32_e32 v11, 0x3e750f2a, v41
	v_mul_f32_e32 v92, 0xbeb58ec6, v77
	v_add_f32_e32 v10, v10, v11
	v_mov_b32_e32 v11, v92
	v_fmac_f32_e32 v11, 0xbf6f5d39, v42
	v_mul_f32_e32 v93, 0x3f62ad3f, v78
	v_add_f32_e32 v10, v10, v11
	v_mov_b32_e32 v11, v93
	;; [unrolled: 4-line block ×6, first 2 shown]
	v_mul_f32_e32 v98, 0xbf6f5d39, v66
	v_fmac_f32_e32 v11, 0x3f116cb1, v34
	v_mov_b32_e32 v12, v98
	v_add_f32_e32 v11, v4, v11
	v_fmac_f32_e32 v12, 0xbeb58ec6, v35
	v_mul_f32_e32 v99, 0xbe750f2a, v69
	v_add_f32_e32 v11, v11, v12
	v_mov_b32_e32 v12, v99
	v_fmac_f32_e32 v12, 0xbf788fa5, v36
	v_mul_f32_e32 v100, 0x3f29c268, v72
	v_add_f32_e32 v11, v11, v12
	v_mov_b32_e32 v12, v100
	;; [unrolled: 4-line block ×3, first 2 shown]
	v_fmac_f32_e32 v12, 0x3df6dbef, v38
	v_mul_f32_e32 v102, 0x3f116cb1, v75
	v_add_f32_e32 v5, v15, v5
	v_add_f32_e32 v11, v11, v12
	v_mov_b32_e32 v12, v102
	v_mul_f32_e32 v103, 0xbeb58ec6, v76
	v_add_f32_e32 v5, v13, v5
	v_fmac_f32_e32 v12, 0x3f52af12, v40
	v_mov_b32_e32 v13, v103
	v_add_f32_e32 v12, v3, v12
	v_fmac_f32_e32 v13, 0x3f6f5d39, v41
	v_mul_f32_e32 v104, 0xbf788fa5, v77
	v_add_f32_e32 v12, v12, v13
	v_mov_b32_e32 v13, v104
	v_fmac_f32_e32 v13, 0x3e750f2a, v42
	v_mul_f32_e32 v105, 0xbf3f9e67, v78
	v_add_f32_e32 v12, v12, v13
	v_mov_b32_e32 v13, v105
	;; [unrolled: 4-line block ×5, first 2 shown]
	v_fmac_f32_e32 v11, 0xbeedf032, v45
	v_mul_f32_e32 v64, 0xbeedf032, v64
	v_add_f32_e32 v6, v16, v6
	v_add_f32_e32 v11, v13, v11
	v_mov_b32_e32 v13, v64
	v_mul_f32_e32 v66, 0xbf52af12, v66
	v_add_f32_e32 v6, v14, v6
	v_fmac_f32_e32 v13, 0x3f62ad3f, v34
	v_mov_b32_e32 v14, v66
	v_add_f32_e32 v13, v4, v13
	v_fmac_f32_e32 v14, 0x3f116cb1, v35
	v_mul_f32_e32 v69, 0xbf7e222b, v69
	v_add_f32_e32 v13, v13, v14
	v_mov_b32_e32 v14, v69
	v_fmac_f32_e32 v14, 0x3df6dbef, v36
	v_mul_f32_e32 v72, 0xbf6f5d39, v72
	v_add_f32_e32 v13, v13, v14
	v_mov_b32_e32 v14, v72
	;; [unrolled: 4-line block ×4, first 2 shown]
	v_mul_f32_e32 v76, 0x3f116cb1, v76
	v_fmac_f32_e32 v14, 0x3eedf032, v40
	v_mov_b32_e32 v15, v76
	v_add_f32_e32 v14, v3, v14
	v_fmac_f32_e32 v15, 0x3f52af12, v41
	v_mul_f32_e32 v77, 0x3df6dbef, v77
	v_add_f32_e32 v14, v14, v15
	v_mov_b32_e32 v15, v77
	v_fmac_f32_e32 v15, 0x3f7e222b, v42
	v_mul_f32_e32 v78, 0xbeb58ec6, v78
	v_add_f32_e32 v14, v14, v15
	v_mov_b32_e32 v15, v78
	;; [unrolled: 4-line block ×5, first 2 shown]
	v_fmac_f32_e32 v13, 0x3e750f2a, v45
	v_fma_f32 v23, v34, s11, -v23
	v_add_f32_e32 v13, v15, v13
	v_fma_f32 v15, v34, s15, -v46
	v_add_f32_e32 v23, v4, v23
	;; [unrolled: 2-line block ×8, first 2 shown]
	v_fma_f32 v20, v38, s15, -v20
	v_fmac_f32_e32 v24, 0xbf6f5d39, v40
	v_add_f32_e32 v15, v15, v16
	v_fma_f32 v16, v38, s11, -v51
	v_fmac_f32_e32 v52, 0xbe750f2a, v40
	v_add_f32_e32 v19, v19, v20
	v_add_f32_e32 v20, v3, v24
	v_fmac_f32_e32 v27, 0x3f29c268, v41
	v_add_f32_e32 v15, v15, v16
	v_add_f32_e32 v16, v3, v52
	v_fmac_f32_e32 v53, 0x3eedf032, v41
	v_add_f32_e32 v20, v20, v27
	v_fmac_f32_e32 v28, 0x3eedf032, v42
	;; [unrolled: 2-line block ×7, first 2 shown]
	v_add_f32_e32 v21, v20, v26
	v_fma_f32 v20, v39, s7, -v81
	v_fmac_f32_e32 v84, 0x3f52af12, v45
	v_add_f32_e32 v17, v16, v57
	v_fma_f32 v16, v39, s10, -v47
	v_fmac_f32_e32 v58, 0x3f7e222b, v45
	v_add_f32_e32 v20, v19, v20
	v_add_f32_e32 v19, v21, v84
	v_fma_f32 v21, v34, s10, -v85
	v_fma_f32 v23, v34, s7, -v97
	v_add_f32_e32 v16, v15, v16
	v_add_f32_e32 v15, v17, v58
	v_fma_f32 v17, v34, s14, -v60
	v_add_f32_e32 v21, v4, v21
	v_fma_f32 v22, v35, s15, -v86
	;; [unrolled: 2-line block ×12, first 2 shown]
	v_fma_f32 v25, v34, s6, -v64
	v_add_f32_e32 v17, v17, v18
	v_fma_f32 v18, v38, s6, -v65
	v_fmac_f32_e32 v67, 0xbf29c268, v40
	v_add_f32_e32 v21, v21, v22
	v_fma_f32 v22, v39, s14, -v95
	v_fmac_f32_e32 v90, 0xbf7e222b, v40
	;; [unrolled: 3-line block ×4, first 2 shown]
	v_add_f32_e32 v17, v17, v18
	v_add_f32_e32 v18, v3, v67
	v_fmac_f32_e32 v68, 0x3f7e222b, v41
	v_add_f32_e32 v22, v21, v22
	v_add_f32_e32 v21, v3, v90
	v_fmac_f32_e32 v91, 0xbe750f2a, v41
	;; [unrolled: 3-line block ×3, first 2 shown]
	v_add_f32_e32 v4, v4, v25
	v_fma_f32 v25, v36, s10, -v69
	v_add_f32_e32 v3, v3, v75
	v_fmac_f32_e32 v76, 0xbf52af12, v41
	v_add_f32_e32 v18, v18, v68
	v_fmac_f32_e32 v70, 0xbf52af12, v42
	v_add_f32_e32 v21, v21, v91
	v_fmac_f32_e32 v92, 0x3f6f5d39, v42
	v_add_f32_e32 v23, v23, v103
	v_fmac_f32_e32 v104, 0xbe750f2a, v42
	v_add_f32_e32 v4, v4, v25
	v_fma_f32 v25, v37, s11, -v72
	v_add_f32_e32 v3, v3, v76
	v_fmac_f32_e32 v77, 0xbf7e222b, v42
	v_add_f32_e32 v18, v18, v70
	v_fmac_f32_e32 v71, 0x3e750f2a, v43
	v_add_f32_e32 v21, v21, v92
	v_fmac_f32_e32 v93, 0x3eedf032, v43
	v_add_f32_e32 v23, v23, v104
	v_fmac_f32_e32 v105, 0x3f29c268, v43
	;; [unrolled: 10-line block ×3, first 2 shown]
	v_add_f32_e32 v4, v4, v25
	v_fma_f32 v25, v39, s15, -v59
	v_add_f32_e32 v3, v3, v78
	v_fmac_f32_e32 v79, 0xbf29c268, v44
	v_add_f32_e32 v46, v18, v73
	v_fma_f32 v18, v39, s11, -v82
	v_fmac_f32_e32 v83, 0xbf6f5d39, v45
	v_add_f32_e32 v21, v21, v94
	v_fmac_f32_e32 v96, 0xbf29c268, v45
	v_add_f32_e32 v23, v23, v106
	;; [unrolled: 2-line block ×3, first 2 shown]
	v_add_f32_e32 v3, v3, v79
	v_fmac_f32_e32 v80, 0xbe750f2a, v45
	v_lshl_add_u32 v25, v55, 3, 0
	v_add_f32_e32 v18, v17, v18
	v_add_f32_e32 v17, v46, v83
	;; [unrolled: 1-line block ×5, first 2 shown]
	ds_write2_b64 v25, v[5:6], v[13:14] offset0:169 offset1:170
	ds_write2_b64 v25, v[11:12], v[9:10] offset0:171 offset1:172
	;; [unrolled: 1-line block ×6, first 2 shown]
	ds_write_b64 v25, v[3:4] offset:1448
.LBB0_15:
	s_or_b64 exec, exec, s[4:5]
	v_mov_b32_e32 v3, 0
	v_lshlrev_b64 v[3:4], 3, v[2:3]
	v_mov_b32_e32 v5, s9
	v_add_co_u32_e64 v3, s[0:1], s8, v3
	v_addc_co_u32_e64 v4, s[0:1], v5, v4, s[0:1]
	v_add_u16_e32 v5, 26, v2
	s_movk_i32 s0, 0x4f
	v_mul_lo_u16_sdwa v6, v5, s0 dst_sel:DWORD dst_unused:UNUSED_PAD src0_sel:BYTE_0 src1_sel:DWORD
	v_lshrrev_b16_e32 v6, 10, v6
	v_mul_lo_u16_e32 v6, 13, v6
	v_sub_u16_e32 v5, v5, v6
	v_mov_b32_e32 v6, 3
	v_lshlrev_b32_sdwa v46, v6, v5 dst_sel:DWORD dst_unused:UNUSED_PAD src0_sel:DWORD src1_sel:BYTE_0
	v_add_u16_e32 v5, 39, v2
	v_mul_lo_u16_sdwa v7, v5, s0 dst_sel:DWORD dst_unused:UNUSED_PAD src0_sel:BYTE_0 src1_sel:DWORD
	v_lshrrev_b16_e32 v7, 10, v7
	v_mul_lo_u16_e32 v7, 13, v7
	v_sub_u16_e32 v5, v5, v7
	v_lshlrev_b32_sdwa v47, v6, v5 dst_sel:DWORD dst_unused:UNUSED_PAD src0_sel:DWORD src1_sel:BYTE_0
	v_add_u16_e32 v5, 52, v2
	v_mul_lo_u16_sdwa v7, v5, s0 dst_sel:DWORD dst_unused:UNUSED_PAD src0_sel:BYTE_0 src1_sel:DWORD
	v_lshrrev_b16_e32 v7, 10, v7
	v_mul_lo_u16_e32 v7, 13, v7
	v_sub_u16_e32 v5, v5, v7
	s_waitcnt lgkmcnt(0)
	; wave barrier
	s_waitcnt lgkmcnt(0)
	v_lshlrev_b32_sdwa v48, v6, v5 dst_sel:DWORD dst_unused:UNUSED_PAD src0_sel:DWORD src1_sel:BYTE_0
	global_load_dwordx2 v[29:30], v[3:4], off
	global_load_dwordx2 v[31:32], v46, s[8:9]
	global_load_dwordx2 v[34:35], v47, s[8:9]
	;; [unrolled: 1-line block ×3, first 2 shown]
	v_add_u16_e32 v3, 0x41, v2
	v_mul_lo_u16_sdwa v4, v3, s0 dst_sel:DWORD dst_unused:UNUSED_PAD src0_sel:BYTE_0 src1_sel:DWORD
	v_lshrrev_b16_e32 v4, 10, v4
	v_mul_lo_u16_e32 v4, 13, v4
	v_sub_u16_e32 v3, v3, v4
	v_lshlrev_b32_sdwa v49, v6, v3 dst_sel:DWORD dst_unused:UNUSED_PAD src0_sel:DWORD src1_sel:BYTE_0
	v_add_u16_e32 v3, 0x4e, v2
	v_mul_lo_u16_sdwa v4, v3, s0 dst_sel:DWORD dst_unused:UNUSED_PAD src0_sel:BYTE_0 src1_sel:DWORD
	v_lshrrev_b16_e32 v4, 10, v4
	v_mul_lo_u16_e32 v4, 13, v4
	v_sub_u16_e32 v3, v3, v4
	global_load_dwordx2 v[38:39], v49, s[8:9]
	v_lshlrev_b32_sdwa v50, v6, v3 dst_sel:DWORD dst_unused:UNUSED_PAD src0_sel:DWORD src1_sel:BYTE_0
	global_load_dwordx2 v[40:41], v50, s[8:9]
	v_add_u32_e32 v51, 0, v33
	v_lshlrev_b32_e32 v4, 3, v2
	v_add_u32_e32 v3, v51, v4
	v_add3_u32 v4, 0, v4, v33
	ds_read2_b64 v[5:8], v4 offset0:91 offset1:104
	ds_read2_b64 v[9:12], v4 offset0:13 offset1:26
	;; [unrolled: 1-line block ×6, first 2 shown]
	ds_read_b64 v[42:43], v3
	ds_read_b64 v[44:45], v4 offset:1352
	s_waitcnt lgkmcnt(0)
	; wave barrier
	s_waitcnt vmcnt(5) lgkmcnt(0)
	v_mul_f32_e32 v33, v30, v6
	v_mul_f32_e32 v52, v30, v5
	;; [unrolled: 1-line block ×4, first 2 shown]
	v_fma_f32 v5, v29, v5, -v33
	v_fmac_f32_e32 v52, v29, v6
	v_fma_f32 v33, v29, v7, -v53
	v_fmac_f32_e32 v30, v29, v8
	s_waitcnt vmcnt(4)
	v_mul_f32_e32 v6, v32, v14
	v_mul_f32_e32 v29, v32, v13
	s_waitcnt vmcnt(3)
	v_mul_f32_e32 v7, v35, v16
	v_mul_f32_e32 v32, v35, v15
	s_waitcnt vmcnt(2)
	v_mul_f32_e32 v8, v22, v37
	v_sub_f32_e32 v5, v42, v5
	v_fma_f32 v54, v31, v13, -v6
	v_fmac_f32_e32 v29, v31, v14
	v_sub_f32_e32 v6, v43, v52
	v_mul_f32_e32 v35, v21, v37
	v_fma_f32 v31, v34, v15, -v7
	v_fmac_f32_e32 v32, v34, v16
	v_fma_f32 v34, v21, v36, -v8
	v_fma_f32 v7, v42, 2.0, -v5
	v_fma_f32 v8, v43, 2.0, -v6
	v_sub_f32_e32 v13, v9, v33
	v_sub_f32_e32 v14, v10, v30
	;; [unrolled: 1-line block ×4, first 2 shown]
	s_waitcnt vmcnt(1)
	v_mul_f32_e32 v37, v24, v39
	v_mul_f32_e32 v39, v23, v39
	v_fmac_f32_e32 v35, v22, v36
	v_fma_f32 v9, v9, 2.0, -v13
	v_fma_f32 v10, v10, 2.0, -v14
	;; [unrolled: 1-line block ×4, first 2 shown]
	v_sub_f32_e32 v21, v17, v31
	v_sub_f32_e32 v22, v18, v32
	ds_write2_b64 v4, v[7:8], v[5:6] offset1:13
	ds_write2_b64 v4, v[9:10], v[13:14] offset0:26 offset1:39
	v_add_u32_e32 v5, v51, v46
	s_waitcnt vmcnt(0)
	v_mul_f32_e32 v53, v45, v41
	v_mul_f32_e32 v41, v44, v41
	v_fma_f32 v36, v23, v38, -v37
	v_fmac_f32_e32 v39, v24, v38
	v_fma_f32 v17, v17, 2.0, -v21
	v_fma_f32 v18, v18, 2.0, -v22
	v_sub_f32_e32 v23, v19, v34
	v_sub_f32_e32 v24, v20, v35
	ds_write2_b64 v5, v[11:12], v[15:16] offset0:52 offset1:65
	v_add_u32_e32 v5, v51, v47
	v_fma_f32 v37, v44, v40, -v53
	v_fmac_f32_e32 v41, v45, v40
	v_fma_f32 v19, v19, 2.0, -v23
	v_fma_f32 v20, v20, 2.0, -v24
	v_sub_f32_e32 v29, v25, v36
	v_sub_f32_e32 v30, v26, v39
	ds_write2_b64 v5, v[17:18], v[21:22] offset0:78 offset1:91
	v_add_u32_e32 v5, v51, v48
	v_fma_f32 v25, v25, 2.0, -v29
	v_fma_f32 v26, v26, 2.0, -v30
	v_sub_f32_e32 v31, v27, v37
	v_sub_f32_e32 v32, v28, v41
	ds_write2_b64 v5, v[19:20], v[23:24] offset0:104 offset1:117
	v_add_u32_e32 v5, v51, v49
	v_fma_f32 v27, v27, 2.0, -v31
	v_fma_f32 v28, v28, 2.0, -v32
	ds_write2_b64 v5, v[25:26], v[29:30] offset0:130 offset1:143
	v_add_u32_e32 v5, v51, v50
	ds_write2_b64 v5, v[27:28], v[31:32] offset0:156 offset1:169
	s_waitcnt lgkmcnt(0)
	; wave barrier
	s_waitcnt lgkmcnt(0)
	s_and_saveexec_b64 s[0:1], vcc
	s_cbranch_execz .LBB0_17
; %bb.16:
	v_add_u32_e32 v5, 13, v2
	v_mul_u32_u24_e32 v5, 6, v5
	v_lshlrev_b32_e32 v17, 3, v5
	global_load_dwordx4 v[5:8], v17, s[8:9] offset:104
	global_load_dwordx4 v[9:12], v17, s[8:9] offset:136
	;; [unrolled: 1-line block ×3, first 2 shown]
	v_mul_u32_u24_e32 v41, 6, v2
	v_lshlrev_b32_e32 v55, 3, v41
	ds_read2_b64 v[17:20], v4 offset0:39 offset1:52
	ds_read2_b64 v[21:24], v4 offset0:117 offset1:130
	;; [unrolled: 1-line block ×6, first 2 shown]
	ds_read_b64 v[53:54], v4 offset:1352
	ds_read_b64 v[3:4], v3
	global_load_dwordx4 v[41:44], v55, s[8:9] offset:136
	global_load_dwordx4 v[45:48], v55, s[8:9] offset:120
	;; [unrolled: 1-line block ×3, first 2 shown]
	s_mov_b32 s1, 0xbeae86e6
	s_mov_b32 s4, 0xbf3bfb3b
	;; [unrolled: 1-line block ×4, first 2 shown]
	s_waitcnt vmcnt(5) lgkmcnt(7)
	v_mul_f32_e32 v55, v6, v18
	s_waitcnt vmcnt(4) lgkmcnt(1)
	v_mul_f32_e32 v56, v12, v54
	s_waitcnt vmcnt(3)
	v_mul_f32_e32 v57, v16, v22
	v_mul_f32_e32 v58, v14, v26
	;; [unrolled: 1-line block ×10, first 2 shown]
	v_fmac_f32_e32 v54, v53, v12
	v_fmac_f32_e32 v18, v17, v6
	;; [unrolled: 1-line block ×6, first 2 shown]
	v_fma_f32 v5, v5, v17, -v55
	v_fma_f32 v11, v11, v53, -v56
	v_fma_f32 v15, v15, v21, -v57
	v_fma_f32 v13, v13, v25, -v58
	v_fma_f32 v7, v7, v29, -v59
	v_fma_f32 v9, v9, v33, -v60
	v_add_f32_e32 v14, v18, v54
	v_add_f32_e32 v8, v22, v26
	;; [unrolled: 1-line block ×3, first 2 shown]
	v_sub_f32_e32 v10, v5, v11
	v_sub_f32_e32 v6, v15, v13
	v_sub_f32_e32 v12, v7, v9
	v_add_f32_e32 v11, v5, v11
	v_add_f32_e32 v5, v15, v13
	;; [unrolled: 1-line block ×3, first 2 shown]
	v_sub_f32_e32 v7, v22, v26
	v_sub_f32_e32 v22, v8, v16
	v_add_f32_e32 v25, v14, v16
	v_sub_f32_e32 v13, v18, v54
	v_sub_f32_e32 v15, v30, v34
	;; [unrolled: 1-line block ×4, first 2 shown]
	v_add_f32_e32 v6, v6, v12
	v_sub_f32_e32 v21, v14, v8
	v_sub_f32_e32 v29, v5, v9
	v_add_f32_e32 v30, v11, v9
	v_mul_f32_e32 v22, 0x3d64c772, v22
	v_add_f32_e32 v8, v8, v25
	v_sub_f32_e32 v34, v7, v15
	v_add_f32_e32 v53, v10, v6
	v_mul_f32_e32 v29, 0x3d64c772, v29
	v_add_f32_e32 v30, v5, v30
	v_mov_b32_e32 v56, v22
	v_add_f32_e32 v6, v8, v38
	v_sub_f32_e32 v26, v11, v5
	v_mul_f32_e32 v18, 0xbf08b237, v18
	v_mul_f32_e32 v54, 0x3f4a47b2, v21
	;; [unrolled: 1-line block ×3, first 2 shown]
	v_mov_b32_e32 v38, v29
	v_add_f32_e32 v5, v30, v37
	v_fmac_f32_e32 v56, 0x3f4a47b2, v21
	v_mov_b32_e32 v21, v6
	v_sub_f32_e32 v12, v12, v10
	v_sub_f32_e32 v33, v13, v7
	v_mul_f32_e32 v25, 0x3f4a47b2, v26
	v_mov_b32_e32 v55, v18
	v_mov_b32_e32 v37, v34
	v_fmac_f32_e32 v38, 0x3f4a47b2, v26
	v_mov_b32_e32 v26, v5
	v_fmac_f32_e32 v21, 0xbf955555, v8
	v_add_f32_e32 v7, v7, v15
	v_mul_f32_e32 v10, 0x3f5ff5aa, v12
	v_sub_f32_e32 v14, v16, v14
	v_fmac_f32_e32 v55, 0x3eae86e6, v17
	v_fmac_f32_e32 v37, 0x3eae86e6, v33
	;; [unrolled: 1-line block ×3, first 2 shown]
	v_add_f32_e32 v30, v56, v21
	v_add_f32_e32 v56, v13, v7
	v_fma_f32 v17, v17, s1, -v10
	v_fma_f32 v10, v14, s4, -v54
	v_sub_f32_e32 v11, v9, v11
	v_add_f32_e32 v38, v38, v26
	v_fmac_f32_e32 v37, 0x3ee1c552, v56
	v_fmac_f32_e32 v17, 0x3ee1c552, v53
	v_add_f32_e32 v16, v10, v21
	v_fma_f32 v9, v11, s4, -v25
	v_sub_f32_e32 v13, v15, v13
	v_sub_f32_e32 v7, v38, v37
	v_add_f32_e32 v10, v17, v16
	v_add_f32_e32 v25, v9, v26
	v_mul_f32_e32 v9, 0x3f5ff5aa, v13
	v_fma_f32 v14, v14, s5, -v22
	v_fma_f32 v11, v11, s5, -v29
	;; [unrolled: 1-line block ×3, first 2 shown]
	v_sub_f32_e32 v16, v16, v17
	v_add_f32_e32 v17, v37, v38
	s_waitcnt vmcnt(2)
	v_mul_f32_e32 v22, v44, v36
	v_mul_f32_e32 v37, v42, v24
	;; [unrolled: 1-line block ×4, first 2 shown]
	v_add_f32_e32 v14, v14, v21
	v_add_f32_e32 v21, v11, v26
	v_fmac_f32_e32 v13, 0x3ee1c552, v56
	v_fma_f32 v22, v43, v35, -v22
	v_fma_f32 v37, v41, v23, -v37
	v_fmac_f32_e32 v36, v35, v44
	s_waitcnt vmcnt(0)
	v_mul_f32_e32 v35, v49, v40
	v_fmac_f32_e32 v24, v42, v23
	v_mul_f32_e32 v23, v51, v20
	v_add_f32_e32 v11, v13, v21
	v_sub_f32_e32 v13, v21, v13
	v_mul_f32_e32 v21, v50, v40
	v_mul_f32_e32 v26, v48, v28
	;; [unrolled: 1-line block ×3, first 2 shown]
	v_fmac_f32_e32 v35, v50, v39
	v_mul_f32_e32 v32, v45, v32
	v_mul_f32_e32 v28, v47, v28
	v_fmac_f32_e32 v23, v52, v19
	v_fma_f32 v21, v49, v39, -v21
	v_add_f32_e32 v39, v35, v36
	v_fmac_f32_e32 v32, v46, v31
	v_fmac_f32_e32 v28, v48, v27
	v_add_f32_e32 v41, v23, v24
	v_fma_f32 v26, v47, v27, -v26
	v_mul_f32_e32 v34, v52, v20
	v_add_f32_e32 v27, v28, v32
	v_add_f32_e32 v20, v39, v41
	v_fma_f32 v34, v51, v19, -v34
	v_sub_f32_e32 v19, v27, v41
	v_add_f32_e32 v20, v27, v20
	v_mul_f32_e32 v42, 0x3d64c772, v19
	s_waitcnt lgkmcnt(0)
	v_add_f32_e32 v4, v20, v4
	v_fma_f32 v18, v12, s0, -v18
	v_fma_f32 v29, v45, v31, -v29
	v_sub_f32_e32 v31, v39, v27
	v_mov_b32_e32 v19, v42
	v_mov_b32_e32 v27, v4
	v_fmac_f32_e32 v55, 0x3ee1c552, v53
	v_fmac_f32_e32 v18, 0x3ee1c552, v53
	;; [unrolled: 1-line block ×4, first 2 shown]
	v_add_f32_e32 v8, v55, v30
	v_fma_f32 v15, v33, s1, -v9
	v_sub_f32_e32 v12, v14, v18
	v_add_f32_e32 v14, v18, v14
	v_sub_f32_e32 v18, v30, v55
	v_sub_f32_e32 v30, v26, v29
	v_add_f32_e32 v43, v19, v27
	v_add_f32_e32 v19, v26, v29
	;; [unrolled: 1-line block ×3, first 2 shown]
	v_fmac_f32_e32 v15, 0x3ee1c552, v56
	v_mul_f32_e32 v40, 0x3f4a47b2, v31
	v_sub_f32_e32 v31, v19, v29
	v_sub_f32_e32 v9, v25, v15
	v_add_f32_e32 v15, v15, v25
	v_sub_f32_e32 v25, v21, v22
	v_add_f32_e32 v21, v21, v22
	v_mul_f32_e32 v31, 0x3d64c772, v31
	v_sub_f32_e32 v38, v34, v37
	v_sub_f32_e32 v22, v21, v19
	v_mov_b32_e32 v34, v31
	v_mul_f32_e32 v26, 0x3f4a47b2, v22
	v_fmac_f32_e32 v34, 0x3f4a47b2, v22
	v_add_f32_e32 v22, v21, v29
	v_add_f32_e32 v19, v19, v22
	;; [unrolled: 1-line block ×3, first 2 shown]
	v_mov_b32_e32 v37, v3
	v_sub_f32_e32 v53, v30, v38
	v_fmac_f32_e32 v37, 0xbf955555, v19
	v_sub_f32_e32 v19, v28, v32
	v_sub_f32_e32 v23, v23, v24
	;; [unrolled: 1-line block ×3, first 2 shown]
	v_mul_f32_e32 v53, 0xbf08b237, v53
	v_add_f32_e32 v30, v30, v38
	v_sub_f32_e32 v22, v19, v23
	v_sub_f32_e32 v24, v38, v25
	v_mov_b32_e32 v54, v53
	v_add_f32_e32 v30, v25, v30
	v_mul_f32_e32 v32, 0xbf08b237, v22
	v_mul_f32_e32 v22, 0x3f5ff5aa, v24
	v_sub_f32_e32 v25, v41, v39
	v_sub_f32_e32 v29, v29, v21
	v_fmac_f32_e32 v54, 0x3eae86e6, v33
	v_fma_f32 v33, v33, s1, -v22
	v_fma_f32 v22, v25, s4, -v40
	;; [unrolled: 1-line block ×4, first 2 shown]
	s_mov_b32 s4, 0x4ec4ec4f
	v_add_f32_e32 v38, v22, v27
	v_add_f32_e32 v27, v25, v27
	v_mul_hi_u32 v25, v2, s4
	v_sub_f32_e32 v35, v35, v36
	v_sub_f32_e32 v28, v35, v19
	v_add_f32_e32 v19, v19, v23
	v_lshrrev_b32_e32 v25, 3, v25
	v_mul_lo_u32 v25, v25, 26
	v_sub_f32_e32 v23, v23, v35
	v_mov_b32_e32 v36, v32
	v_add_f32_e32 v39, v21, v37
	v_mul_f32_e32 v21, 0x3f5ff5aa, v23
	v_fma_f32 v26, v29, s5, -v31
	v_add_f32_e32 v34, v34, v37
	v_fmac_f32_e32 v36, 0x3eae86e6, v28
	v_add_f32_e32 v44, v35, v19
	v_fma_f32 v35, v28, s1, -v21
	v_fma_f32 v28, v24, s0, -v53
	v_add_f32_e32 v29, v26, v37
	v_sub_u32_e32 v37, v2, v25
	v_fmac_f32_e32 v54, 0x3ee1c552, v30
	v_fmac_f32_e32 v33, 0x3ee1c552, v30
	;; [unrolled: 1-line block ×3, first 2 shown]
	v_fma_f32 v30, v23, s0, -v32
	v_mad_u64_u32 v[25:26], s[0:1], s2, v37, 0
	v_fmac_f32_e32 v30, 0x3ee1c552, v44
	v_sub_f32_e32 v24, v27, v28
	v_add_f32_e32 v28, v28, v27
	v_sub_f32_e32 v27, v29, v30
	v_fmac_f32_e32 v36, 0x3ee1c552, v44
	v_mad_u64_u32 v[31:32], s[0:1], s3, v37, v[26:27]
	v_sub_f32_e32 v19, v34, v36
	v_fmac_f32_e32 v35, 0x3ee1c552, v44
	v_add_f32_e32 v32, v36, v34
	v_add_u32_e32 v36, 26, v37
	v_sub_f32_e32 v21, v39, v35
	v_add_f32_e32 v23, v30, v29
	v_add_f32_e32 v29, v35, v39
	v_mad_u64_u32 v[34:35], s[0:1], s2, v36, 0
	v_add_f32_e32 v22, v33, v38
	v_sub_f32_e32 v30, v38, v33
	v_mov_b32_e32 v26, v31
	v_mov_b32_e32 v31, s13
	v_add_co_u32_e32 v38, vcc, s12, v0
	v_addc_co_u32_e32 v31, vcc, v31, v1, vcc
	v_lshlrev_b64 v[0:1], 3, v[25:26]
	v_mov_b32_e32 v25, v35
	v_mad_u64_u32 v[25:26], s[0:1], s3, v36, v[25:26]
	v_add_co_u32_e32 v0, vcc, v38, v0
	v_addc_co_u32_e32 v1, vcc, v31, v1, vcc
	v_mov_b32_e32 v35, v25
	v_add_u32_e32 v25, 52, v37
	global_store_dwordx2 v[0:1], v[3:4], off
	v_mad_u64_u32 v[3:4], s[0:1], s2, v25, 0
	v_lshlrev_b64 v[0:1], 3, v[34:35]
	v_sub_f32_e32 v33, v43, v54
	v_mad_u64_u32 v[25:26], s[0:1], s3, v25, v[4:5]
	v_add_u32_e32 v26, 0x4e, v37
	v_mad_u64_u32 v[34:35], s[0:1], s2, v26, 0
	v_add_co_u32_e32 v0, vcc, v38, v0
	v_addc_co_u32_e32 v1, vcc, v31, v1, vcc
	v_mov_b32_e32 v4, v25
	global_store_dwordx2 v[0:1], v[32:33], off
	v_lshlrev_b64 v[0:1], 3, v[3:4]
	v_mov_b32_e32 v3, v35
	v_mad_u64_u32 v[3:4], s[0:1], s3, v26, v[3:4]
	v_add_u32_e32 v25, 0x68, v37
	v_add_co_u32_e32 v0, vcc, v38, v0
	v_mov_b32_e32 v35, v3
	v_mad_u64_u32 v[3:4], s[0:1], s2, v25, 0
	v_addc_co_u32_e32 v1, vcc, v31, v1, vcc
	v_mad_u64_u32 v[25:26], s[0:1], s3, v25, v[4:5]
	global_store_dwordx2 v[0:1], v[29:30], off
	v_lshlrev_b64 v[0:1], 3, v[34:35]
	v_add_u32_e32 v26, 0x82, v37
	v_mad_u64_u32 v[29:30], s[0:1], s2, v26, 0
	v_add_co_u32_e32 v0, vcc, v38, v0
	v_addc_co_u32_e32 v1, vcc, v31, v1, vcc
	v_mov_b32_e32 v4, v25
	global_store_dwordx2 v[0:1], v[27:28], off
	v_lshlrev_b64 v[0:1], 3, v[3:4]
	v_mov_b32_e32 v3, v30
	v_mad_u64_u32 v[3:4], s[0:1], s3, v26, v[3:4]
	v_add_co_u32_e32 v0, vcc, v38, v0
	v_addc_co_u32_e32 v1, vcc, v31, v1, vcc
	v_add_u32_e32 v4, 13, v2
	global_store_dwordx2 v[0:1], v[23:24], off
	v_mul_hi_u32 v23, v4, s4
	v_add_u32_e32 v25, 0x9c, v37
	v_mov_b32_e32 v30, v3
	v_mad_u64_u32 v[2:3], s[0:1], s2, v25, 0
	v_lshrrev_b32_e32 v23, 3, v23
	v_mul_lo_u32 v24, v23, 26
	s_movk_i32 s0, 0xb6
	v_lshlrev_b64 v[0:1], 3, v[29:30]
	v_add_f32_e32 v20, v54, v43
	v_sub_u32_e32 v4, v4, v24
	v_mad_u64_u32 v[23:24], s[0:1], v23, s0, v[4:5]
	v_mad_u64_u32 v[3:4], s[0:1], s3, v25, v[3:4]
	;; [unrolled: 1-line block ×3, first 2 shown]
	v_add_co_u32_e32 v0, vcc, v38, v0
	v_addc_co_u32_e32 v1, vcc, v31, v1, vcc
	global_store_dwordx2 v[0:1], v[21:22], off
	v_lshlrev_b64 v[0:1], 3, v[2:3]
	v_mov_b32_e32 v2, v25
	v_mad_u64_u32 v[2:3], s[0:1], s3, v23, v[2:3]
	v_add_u32_e32 v4, 26, v23
	v_add_co_u32_e32 v0, vcc, v38, v0
	v_mov_b32_e32 v25, v2
	v_mad_u64_u32 v[2:3], s[0:1], s2, v4, 0
	v_addc_co_u32_e32 v1, vcc, v31, v1, vcc
	v_mad_u64_u32 v[3:4], s[0:1], s3, v4, v[3:4]
	v_add_u32_e32 v4, 52, v23
	global_store_dwordx2 v[0:1], v[19:20], off
	v_lshlrev_b64 v[0:1], 3, v[24:25]
	v_mad_u64_u32 v[19:20], s[0:1], s2, v4, 0
	v_add_co_u32_e32 v0, vcc, v38, v0
	v_addc_co_u32_e32 v1, vcc, v31, v1, vcc
	global_store_dwordx2 v[0:1], v[5:6], off
	v_lshlrev_b64 v[0:1], 3, v[2:3]
	v_mov_b32_e32 v2, v20
	v_mad_u64_u32 v[2:3], s[0:1], s3, v4, v[2:3]
	v_add_u32_e32 v4, 0x4e, v23
	v_add_co_u32_e32 v0, vcc, v38, v0
	v_mov_b32_e32 v20, v2
	v_mad_u64_u32 v[2:3], s[0:1], s2, v4, 0
	v_addc_co_u32_e32 v1, vcc, v31, v1, vcc
	v_mad_u64_u32 v[3:4], s[0:1], s3, v4, v[3:4]
	v_add_u32_e32 v6, 0x68, v23
	global_store_dwordx2 v[0:1], v[17:18], off
	v_lshlrev_b64 v[0:1], 3, v[19:20]
	v_mad_u64_u32 v[4:5], s[0:1], s2, v6, 0
	v_add_co_u32_e32 v0, vcc, v38, v0
	v_addc_co_u32_e32 v1, vcc, v31, v1, vcc
	global_store_dwordx2 v[0:1], v[15:16], off
	v_lshlrev_b64 v[0:1], 3, v[2:3]
	v_mov_b32_e32 v2, v5
	v_mad_u64_u32 v[2:3], s[0:1], s3, v6, v[2:3]
	v_add_co_u32_e32 v0, vcc, v38, v0
	v_addc_co_u32_e32 v1, vcc, v31, v1, vcc
	v_mov_b32_e32 v5, v2
	global_store_dwordx2 v[0:1], v[13:14], off
	v_lshlrev_b64 v[0:1], 3, v[4:5]
	v_add_u32_e32 v4, 0x82, v23
	v_mad_u64_u32 v[2:3], s[0:1], s2, v4, 0
	v_add_u32_e32 v6, 0x9c, v23
	v_add_co_u32_e32 v0, vcc, v38, v0
	v_mad_u64_u32 v[3:4], s[0:1], s3, v4, v[3:4]
	v_mad_u64_u32 v[4:5], s[0:1], s2, v6, 0
	v_addc_co_u32_e32 v1, vcc, v31, v1, vcc
	global_store_dwordx2 v[0:1], v[11:12], off
	v_lshlrev_b64 v[0:1], 3, v[2:3]
	v_mov_b32_e32 v2, v5
	v_mad_u64_u32 v[2:3], s[0:1], s3, v6, v[2:3]
	v_add_co_u32_e32 v0, vcc, v38, v0
	v_addc_co_u32_e32 v1, vcc, v31, v1, vcc
	v_mov_b32_e32 v5, v2
	global_store_dwordx2 v[0:1], v[9:10], off
	v_lshlrev_b64 v[0:1], 3, v[4:5]
	v_add_co_u32_e32 v0, vcc, v38, v0
	v_addc_co_u32_e32 v1, vcc, v31, v1, vcc
	global_store_dwordx2 v[0:1], v[7:8], off
.LBB0_17:
	s_endpgm
	.section	.rodata,"a",@progbits
	.p2align	6, 0x0
	.amdhsa_kernel fft_rtc_fwd_len182_factors_13_2_7_wgs_52_tpt_13_sp_ip_CI_sbrr_dirReg
		.amdhsa_group_segment_fixed_size 0
		.amdhsa_private_segment_fixed_size 0
		.amdhsa_kernarg_size 88
		.amdhsa_user_sgpr_count 6
		.amdhsa_user_sgpr_private_segment_buffer 1
		.amdhsa_user_sgpr_dispatch_ptr 0
		.amdhsa_user_sgpr_queue_ptr 0
		.amdhsa_user_sgpr_kernarg_segment_ptr 1
		.amdhsa_user_sgpr_dispatch_id 0
		.amdhsa_user_sgpr_flat_scratch_init 0
		.amdhsa_user_sgpr_private_segment_size 0
		.amdhsa_uses_dynamic_stack 0
		.amdhsa_system_sgpr_private_segment_wavefront_offset 0
		.amdhsa_system_sgpr_workgroup_id_x 1
		.amdhsa_system_sgpr_workgroup_id_y 0
		.amdhsa_system_sgpr_workgroup_id_z 0
		.amdhsa_system_sgpr_workgroup_info 0
		.amdhsa_system_vgpr_workitem_id 0
		.amdhsa_next_free_vgpr 109
		.amdhsa_next_free_sgpr 24
		.amdhsa_reserve_vcc 1
		.amdhsa_reserve_flat_scratch 0
		.amdhsa_float_round_mode_32 0
		.amdhsa_float_round_mode_16_64 0
		.amdhsa_float_denorm_mode_32 3
		.amdhsa_float_denorm_mode_16_64 3
		.amdhsa_dx10_clamp 1
		.amdhsa_ieee_mode 1
		.amdhsa_fp16_overflow 0
		.amdhsa_exception_fp_ieee_invalid_op 0
		.amdhsa_exception_fp_denorm_src 0
		.amdhsa_exception_fp_ieee_div_zero 0
		.amdhsa_exception_fp_ieee_overflow 0
		.amdhsa_exception_fp_ieee_underflow 0
		.amdhsa_exception_fp_ieee_inexact 0
		.amdhsa_exception_int_div_zero 0
	.end_amdhsa_kernel
	.text
.Lfunc_end0:
	.size	fft_rtc_fwd_len182_factors_13_2_7_wgs_52_tpt_13_sp_ip_CI_sbrr_dirReg, .Lfunc_end0-fft_rtc_fwd_len182_factors_13_2_7_wgs_52_tpt_13_sp_ip_CI_sbrr_dirReg
                                        ; -- End function
	.section	.AMDGPU.csdata,"",@progbits
; Kernel info:
; codeLenInByte = 11104
; NumSgprs: 28
; NumVgprs: 109
; ScratchSize: 0
; MemoryBound: 0
; FloatMode: 240
; IeeeMode: 1
; LDSByteSize: 0 bytes/workgroup (compile time only)
; SGPRBlocks: 3
; VGPRBlocks: 27
; NumSGPRsForWavesPerEU: 28
; NumVGPRsForWavesPerEU: 109
; Occupancy: 2
; WaveLimiterHint : 1
; COMPUTE_PGM_RSRC2:SCRATCH_EN: 0
; COMPUTE_PGM_RSRC2:USER_SGPR: 6
; COMPUTE_PGM_RSRC2:TRAP_HANDLER: 0
; COMPUTE_PGM_RSRC2:TGID_X_EN: 1
; COMPUTE_PGM_RSRC2:TGID_Y_EN: 0
; COMPUTE_PGM_RSRC2:TGID_Z_EN: 0
; COMPUTE_PGM_RSRC2:TIDIG_COMP_CNT: 0
	.type	__hip_cuid_1b79b9891e8bf8d2,@object ; @__hip_cuid_1b79b9891e8bf8d2
	.section	.bss,"aw",@nobits
	.globl	__hip_cuid_1b79b9891e8bf8d2
__hip_cuid_1b79b9891e8bf8d2:
	.byte	0                               ; 0x0
	.size	__hip_cuid_1b79b9891e8bf8d2, 1

	.ident	"AMD clang version 19.0.0git (https://github.com/RadeonOpenCompute/llvm-project roc-6.4.0 25133 c7fe45cf4b819c5991fe208aaa96edf142730f1d)"
	.section	".note.GNU-stack","",@progbits
	.addrsig
	.addrsig_sym __hip_cuid_1b79b9891e8bf8d2
	.amdgpu_metadata
---
amdhsa.kernels:
  - .args:
      - .actual_access:  read_only
        .address_space:  global
        .offset:         0
        .size:           8
        .value_kind:     global_buffer
      - .offset:         8
        .size:           8
        .value_kind:     by_value
      - .actual_access:  read_only
        .address_space:  global
        .offset:         16
        .size:           8
        .value_kind:     global_buffer
      - .actual_access:  read_only
        .address_space:  global
        .offset:         24
        .size:           8
        .value_kind:     global_buffer
      - .offset:         32
        .size:           8
        .value_kind:     by_value
      - .actual_access:  read_only
        .address_space:  global
        .offset:         40
        .size:           8
        .value_kind:     global_buffer
      - .actual_access:  read_only
        .address_space:  global
        .offset:         48
        .size:           8
        .value_kind:     global_buffer
      - .offset:         56
        .size:           4
        .value_kind:     by_value
      - .actual_access:  read_only
        .address_space:  global
        .offset:         64
        .size:           8
        .value_kind:     global_buffer
      - .actual_access:  read_only
        .address_space:  global
        .offset:         72
        .size:           8
        .value_kind:     global_buffer
      - .address_space:  global
        .offset:         80
        .size:           8
        .value_kind:     global_buffer
    .group_segment_fixed_size: 0
    .kernarg_segment_align: 8
    .kernarg_segment_size: 88
    .language:       OpenCL C
    .language_version:
      - 2
      - 0
    .max_flat_workgroup_size: 52
    .name:           fft_rtc_fwd_len182_factors_13_2_7_wgs_52_tpt_13_sp_ip_CI_sbrr_dirReg
    .private_segment_fixed_size: 0
    .sgpr_count:     28
    .sgpr_spill_count: 0
    .symbol:         fft_rtc_fwd_len182_factors_13_2_7_wgs_52_tpt_13_sp_ip_CI_sbrr_dirReg.kd
    .uniform_work_group_size: 1
    .uses_dynamic_stack: false
    .vgpr_count:     109
    .vgpr_spill_count: 0
    .wavefront_size: 64
amdhsa.target:   amdgcn-amd-amdhsa--gfx906
amdhsa.version:
  - 1
  - 2
...

	.end_amdgpu_metadata
